;; amdgpu-corpus repo=zjin-lcf/HeCBench kind=compiled arch=gfx906 opt=O3
	.amdgcn_target "amdgcn-amd-amdhsa--gfx906"
	.amdhsa_code_object_version 6
	.text
	.protected	_Z24kernel_256_winograd_BtdBPKfPf ; -- Begin function _Z24kernel_256_winograd_BtdBPKfPf
	.globl	_Z24kernel_256_winograd_BtdBPKfPf
	.p2align	8
	.type	_Z24kernel_256_winograd_BtdBPKfPf,@function
_Z24kernel_256_winograd_BtdBPKfPf:      ; @_Z24kernel_256_winograd_BtdBPKfPf
; %bb.0:
	s_load_dwordx4 s[0:3], s[4:5], 0x0
	s_lshl_b32 s4, s6, 14
	s_lshl_b32 s5, s7, 10
	;; [unrolled: 1-line block ×3, first 2 shown]
	v_lshlrev_b32_e32 v2, 8, v1
	v_add_u32_e32 v3, s12, v0
	s_add_i32 s4, s4, s5
	v_add3_u32 v2, v3, v2, s4
	v_ashrrev_i32_e32 v3, 31, v2
	v_lshlrev_b64 v[2:3], 2, v[2:3]
	s_waitcnt lgkmcnt(0)
	v_mov_b32_e32 v4, s1
	v_add_co_u32_e32 v2, vcc, s0, v2
	v_addc_co_u32_e32 v3, vcc, v4, v3, vcc
	s_movk_i32 s0, 0x4000
	v_add_co_u32_e32 v4, vcc, s0, v2
	v_addc_co_u32_e32 v5, vcc, 0, v3, vcc
	s_mov_b32 s0, 0x8000
	v_add_co_u32_e32 v6, vcc, s0, v2
	v_addc_co_u32_e32 v7, vcc, 0, v3, vcc
	s_mov_b32 s0, 0xc000
	v_add_co_u32_e32 v8, vcc, s0, v2
	v_addc_co_u32_e32 v9, vcc, 0, v3, vcc
	v_add_co_u32_e32 v10, vcc, 0x10000, v2
	v_addc_co_u32_e32 v11, vcc, 0, v3, vcc
	;; [unrolled: 2-line block ×3, first 2 shown]
	global_load_dword v14, v[2:3], off
	global_load_dword v15, v[4:5], off
	global_load_dword v16, v[6:7], off
	global_load_dword v17, v[8:9], off
	global_load_dword v18, v[10:11], off
	global_load_dword v19, v[12:13], off
	v_lshl_add_u32 v2, v1, 9, 0
	v_lshl_add_u32 v3, v0, 2, v2
	v_cmp_lt_i32_e32 vcc, 2, v1
                                        ; implicit-def: $vgpr8
                                        ; implicit-def: $vgpr7
                                        ; implicit-def: $vgpr6
                                        ; implicit-def: $vgpr5
                                        ; implicit-def: $vgpr4
	s_waitcnt vmcnt(4)
	ds_write2st64_b32 v3, v14, v15 offset1:12
	s_waitcnt vmcnt(2)
	ds_write2st64_b32 v3, v16, v17 offset0:24 offset1:36
	s_waitcnt vmcnt(0)
	ds_write2st64_b32 v3, v18, v19 offset0:48 offset1:60
	s_waitcnt lgkmcnt(0)
	s_barrier
                                        ; implicit-def: $vgpr3
	s_and_saveexec_b64 s[0:1], vcc
	s_xor_b64 s[0:1], exec, s[0:1]
	s_cbranch_execz .LBB0_12
; %bb.1:
	v_cmp_lt_i32_e32 vcc, 3, v1
                                        ; implicit-def: $vgpr8
                                        ; implicit-def: $vgpr7
                                        ; implicit-def: $vgpr6
                                        ; implicit-def: $vgpr5
                                        ; implicit-def: $vgpr4
                                        ; implicit-def: $vgpr3
	s_and_saveexec_b64 s[4:5], vcc
	s_xor_b64 s[4:5], exec, s[4:5]
	s_cbranch_execz .LBB0_9
; %bb.2:
	v_cmp_lt_i32_e32 vcc, 4, v1
                                        ; implicit-def: $vgpr8
                                        ; implicit-def: $vgpr7
                                        ; implicit-def: $vgpr6
                                        ; implicit-def: $vgpr5
                                        ; implicit-def: $vgpr4
                                        ; implicit-def: $vgpr3
	s_and_saveexec_b64 s[8:9], vcc
	s_xor_b64 s[8:9], exec, s[8:9]
	s_cbranch_execz .LBB0_6
; %bb.3:
	v_cmp_ne_u32_e32 vcc, 5, v1
	s_and_saveexec_b64 s[10:11], vcc
	s_xor_b64 s[10:11], exec, s[10:11]
	s_or_saveexec_b64 s[10:11], s[10:11]
	v_mov_b32_e32 v8, 0
	v_mov_b32_e32 v7, 0
	;; [unrolled: 1-line block ×6, first 2 shown]
	s_xor_b64 exec, exec, s[10:11]
	s_cbranch_execz .LBB0_5
; %bb.4:
	v_lshl_add_u32 v15, v0, 2, 0
	ds_read2st64_b32 v[3:4], v15 offset0:36 offset1:38
	ds_read2st64_b32 v[5:6], v15 offset0:12 offset1:14
	;; [unrolled: 1-line block ×6, first 2 shown]
	s_waitcnt lgkmcnt(5)
	v_mul_f32_e32 v3, 0x40a00000, v3
	v_mul_f32_e32 v4, 0x40a00000, v4
	s_waitcnt lgkmcnt(4)
	v_fma_f32 v3, v5, 4.0, -v3
	v_fma_f32 v4, v6, 4.0, -v4
	s_waitcnt lgkmcnt(3)
	v_add_f32_e32 v3, v7, v3
	v_add_f32_e32 v4, v8, v4
	s_waitcnt lgkmcnt(2)
	v_mul_f32_e32 v5, 0x40a00000, v9
	v_mul_f32_e32 v6, 0x40a00000, v10
	ds_read2st64_b32 v[7:8], v15 offset0:44 offset1:46
	ds_read2st64_b32 v[9:10], v15 offset0:20 offset1:22
	;; [unrolled: 1-line block ×3, first 2 shown]
	s_waitcnt lgkmcnt(4)
	v_fma_f32 v5, v11, 4.0, -v5
	v_fma_f32 v6, v12, 4.0, -v6
	s_waitcnt lgkmcnt(2)
	v_mul_f32_e32 v7, 0x40a00000, v7
	v_mul_f32_e32 v8, 0x40a00000, v8
	s_waitcnt lgkmcnt(1)
	v_fma_f32 v7, v9, 4.0, -v7
	v_fma_f32 v8, v10, 4.0, -v8
	v_add_f32_e32 v5, v13, v5
	v_add_f32_e32 v6, v14, v6
	s_waitcnt lgkmcnt(0)
	v_add_f32_e32 v7, v15, v7
	v_add_f32_e32 v8, v16, v8
.LBB0_5:
	s_or_b64 exec, exec, s[10:11]
.LBB0_6:
	s_andn2_saveexec_b64 s[8:9], s[8:9]
	s_cbranch_execz .LBB0_8
; %bb.7:
	v_lshl_add_u32 v17, v0, 2, 0
	ds_read2st64_b32 v[3:4], v17 offset0:12 offset1:14
	ds_read2st64_b32 v[5:6], v17 offset0:24 offset1:26
	;; [unrolled: 1-line block ×4, first 2 shown]
	s_waitcnt lgkmcnt(2)
	v_fma_f32 v3, v3, 2.0, -v5
	v_fma_f32 v4, v4, 2.0, -v6
	ds_read2st64_b32 v[5:6], v17 offset0:16 offset1:18
	ds_read2st64_b32 v[11:12], v17 offset0:28 offset1:30
	;; [unrolled: 1-line block ×4, first 2 shown]
	s_waitcnt lgkmcnt(5)
	v_fmac_f32_e32 v3, -2.0, v7
	v_fmac_f32_e32 v4, -2.0, v8
	s_waitcnt lgkmcnt(4)
	v_add_f32_e32 v3, v9, v3
	v_add_f32_e32 v4, v10, v4
	s_waitcnt lgkmcnt(2)
	v_fma_f32 v5, v5, 2.0, -v11
	v_fma_f32 v6, v6, 2.0, -v12
	ds_read2st64_b32 v[7:8], v17 offset0:20 offset1:22
	ds_read2st64_b32 v[9:10], v17 offset0:32 offset1:34
	;; [unrolled: 1-line block ×4, first 2 shown]
	s_waitcnt lgkmcnt(5)
	v_fmac_f32_e32 v5, -2.0, v13
	v_fmac_f32_e32 v6, -2.0, v14
	s_waitcnt lgkmcnt(2)
	v_fma_f32 v7, v7, 2.0, -v9
	v_fma_f32 v8, v8, 2.0, -v10
	s_waitcnt lgkmcnt(1)
	v_fmac_f32_e32 v7, -2.0, v11
	v_fmac_f32_e32 v8, -2.0, v12
	v_add_f32_e32 v5, v15, v5
	v_add_f32_e32 v6, v16, v6
	s_waitcnt lgkmcnt(0)
	v_add_f32_e32 v7, v17, v7
	v_add_f32_e32 v8, v18, v8
.LBB0_8:
	s_or_b64 exec, exec, s[8:9]
.LBB0_9:
	s_andn2_saveexec_b64 s[4:5], s[4:5]
	s_cbranch_execz .LBB0_11
; %bb.10:
	v_lshl_add_u32 v17, v0, 2, 0
	ds_read2st64_b32 v[3:4], v17 offset0:12 offset1:14
	ds_read2st64_b32 v[5:6], v17 offset0:24 offset1:26
	;; [unrolled: 1-line block ×4, first 2 shown]
	s_waitcnt lgkmcnt(2)
	v_fma_f32 v3, v3, -2.0, -v5
	v_fma_f32 v4, v4, -2.0, -v6
	ds_read2st64_b32 v[5:6], v17 offset0:16 offset1:18
	ds_read2st64_b32 v[11:12], v17 offset0:28 offset1:30
	;; [unrolled: 1-line block ×4, first 2 shown]
	s_waitcnt lgkmcnt(5)
	v_fmac_f32_e32 v3, 2.0, v7
	v_fmac_f32_e32 v4, 2.0, v8
	s_waitcnt lgkmcnt(4)
	v_add_f32_e32 v3, v9, v3
	v_add_f32_e32 v4, v10, v4
	s_waitcnt lgkmcnt(2)
	v_fma_f32 v5, v5, -2.0, -v11
	v_fma_f32 v6, v6, -2.0, -v12
	ds_read2st64_b32 v[7:8], v17 offset0:20 offset1:22
	ds_read2st64_b32 v[9:10], v17 offset0:32 offset1:34
	;; [unrolled: 1-line block ×4, first 2 shown]
	s_waitcnt lgkmcnt(5)
	v_fmac_f32_e32 v5, 2.0, v13
	v_fmac_f32_e32 v6, 2.0, v14
	s_waitcnt lgkmcnt(2)
	v_fma_f32 v7, v7, -2.0, -v9
	v_fma_f32 v8, v8, -2.0, -v10
	s_waitcnt lgkmcnt(1)
	v_fmac_f32_e32 v7, 2.0, v11
	v_fmac_f32_e32 v8, 2.0, v12
	v_add_f32_e32 v5, v15, v5
	v_add_f32_e32 v6, v16, v6
	s_waitcnt lgkmcnt(0)
	v_add_f32_e32 v7, v17, v7
	v_add_f32_e32 v8, v18, v8
.LBB0_11:
	s_or_b64 exec, exec, s[4:5]
.LBB0_12:
	s_andn2_saveexec_b64 s[0:1], s[0:1]
	s_cbranch_execz .LBB0_22
; %bb.13:
	v_cmp_lt_i32_e32 vcc, 0, v1
                                        ; implicit-def: $vgpr8
                                        ; implicit-def: $vgpr7
                                        ; implicit-def: $vgpr6
                                        ; implicit-def: $vgpr5
                                        ; implicit-def: $vgpr4
                                        ; implicit-def: $vgpr3
	s_and_saveexec_b64 s[4:5], vcc
	s_xor_b64 s[4:5], exec, s[4:5]
	s_cbranch_execz .LBB0_19
; %bb.14:
	v_cmp_lt_i32_e32 vcc, 1, v1
                                        ; implicit-def: $vgpr8
                                        ; implicit-def: $vgpr7
                                        ; implicit-def: $vgpr6
                                        ; implicit-def: $vgpr5
                                        ; implicit-def: $vgpr4
                                        ; implicit-def: $vgpr3
	s_and_saveexec_b64 s[8:9], vcc
	s_xor_b64 s[8:9], exec, s[8:9]
	s_cbranch_execz .LBB0_16
; %bb.15:
	v_lshl_add_u32 v15, v0, 2, 0
	ds_read2st64_b32 v[3:4], v15 offset0:24 offset1:26
	ds_read2st64_b32 v[5:6], v15 offset0:12 offset1:14
	;; [unrolled: 1-line block ×4, first 2 shown]
	s_waitcnt lgkmcnt(3)
	v_mul_f32_e32 v3, 4.0, v3
	v_mul_f32_e32 v4, 4.0, v4
	s_waitcnt lgkmcnt(2)
	v_fma_f32 v3, v5, 4.0, -v3
	v_fma_f32 v4, v6, 4.0, -v4
	s_waitcnt lgkmcnt(1)
	v_sub_f32_e32 v3, v3, v7
	v_sub_f32_e32 v4, v4, v8
	ds_read2st64_b32 v[5:6], v15 offset0:28 offset1:30
	ds_read2st64_b32 v[7:8], v15 offset0:16 offset1:18
	;; [unrolled: 1-line block ×4, first 2 shown]
	s_waitcnt lgkmcnt(4)
	v_add_f32_e32 v3, v9, v3
	s_waitcnt lgkmcnt(3)
	v_mul_f32_e32 v5, 4.0, v5
	v_mul_f32_e32 v6, 4.0, v6
	s_waitcnt lgkmcnt(2)
	v_fma_f32 v5, v7, 4.0, -v5
	v_fma_f32 v6, v8, 4.0, -v6
	v_add_f32_e32 v4, v10, v4
	s_waitcnt lgkmcnt(1)
	v_sub_f32_e32 v5, v5, v11
	v_sub_f32_e32 v6, v6, v12
	ds_read2st64_b32 v[7:8], v15 offset0:32 offset1:34
	ds_read2st64_b32 v[9:10], v15 offset0:20 offset1:22
	;; [unrolled: 1-line block ×4, first 2 shown]
	s_waitcnt lgkmcnt(4)
	v_add_f32_e32 v5, v13, v5
	s_waitcnt lgkmcnt(3)
	v_mul_f32_e32 v7, 4.0, v7
	v_mul_f32_e32 v8, 4.0, v8
	s_waitcnt lgkmcnt(2)
	v_fma_f32 v7, v9, 4.0, -v7
	v_fma_f32 v8, v10, 4.0, -v8
	s_waitcnt lgkmcnt(1)
	v_sub_f32_e32 v7, v7, v11
	v_sub_f32_e32 v8, v8, v12
	v_add_f32_e32 v6, v14, v6
	s_waitcnt lgkmcnt(0)
	v_add_f32_e32 v7, v15, v7
	v_add_f32_e32 v8, v16, v8
.LBB0_16:
	s_andn2_saveexec_b64 s[8:9], s[8:9]
	s_cbranch_execz .LBB0_18
; %bb.17:
	v_lshl_add_u32 v15, v0, 2, 0
	ds_read2st64_b32 v[3:4], v15 offset0:24 offset1:26
	ds_read2st64_b32 v[5:6], v15 offset0:12 offset1:14
	;; [unrolled: 1-line block ×4, first 2 shown]
	s_waitcnt lgkmcnt(3)
	v_mul_f32_e32 v3, -4.0, v3
	v_mul_f32_e32 v4, -4.0, v4
	s_waitcnt lgkmcnt(2)
	v_fmac_f32_e32 v3, -4.0, v5
	v_fmac_f32_e32 v4, -4.0, v6
	s_waitcnt lgkmcnt(1)
	v_add_f32_e32 v3, v7, v3
	v_add_f32_e32 v4, v8, v4
	ds_read2st64_b32 v[5:6], v15 offset0:28 offset1:30
	ds_read2st64_b32 v[7:8], v15 offset0:16 offset1:18
	;; [unrolled: 1-line block ×4, first 2 shown]
	s_waitcnt lgkmcnt(4)
	v_add_f32_e32 v3, v9, v3
	s_waitcnt lgkmcnt(3)
	v_mul_f32_e32 v5, -4.0, v5
	v_mul_f32_e32 v6, -4.0, v6
	s_waitcnt lgkmcnt(2)
	v_fmac_f32_e32 v5, -4.0, v7
	v_fmac_f32_e32 v6, -4.0, v8
	v_add_f32_e32 v4, v10, v4
	s_waitcnt lgkmcnt(1)
	v_add_f32_e32 v5, v11, v5
	v_add_f32_e32 v6, v12, v6
	ds_read2st64_b32 v[7:8], v15 offset0:32 offset1:34
	ds_read2st64_b32 v[9:10], v15 offset0:20 offset1:22
	;; [unrolled: 1-line block ×4, first 2 shown]
	s_waitcnt lgkmcnt(4)
	v_add_f32_e32 v5, v13, v5
	s_waitcnt lgkmcnt(3)
	v_mul_f32_e32 v7, -4.0, v7
	v_mul_f32_e32 v8, -4.0, v8
	s_waitcnt lgkmcnt(2)
	v_fmac_f32_e32 v7, -4.0, v9
	v_fmac_f32_e32 v8, -4.0, v10
	s_waitcnt lgkmcnt(1)
	v_add_f32_e32 v7, v11, v7
	v_add_f32_e32 v8, v12, v8
	;; [unrolled: 1-line block ×3, first 2 shown]
	s_waitcnt lgkmcnt(0)
	v_add_f32_e32 v7, v15, v7
	v_add_f32_e32 v8, v16, v8
.LBB0_18:
	s_or_b64 exec, exec, s[8:9]
.LBB0_19:
	s_andn2_saveexec_b64 s[4:5], s[4:5]
	s_cbranch_execz .LBB0_21
; %bb.20:
	v_lshl_add_u32 v15, v0, 2, 0
	ds_read2st64_b32 v[3:4], v15 offset0:24 offset1:26
	ds_read2st64_b32 v[5:6], v15 offset1:2
	ds_read2st64_b32 v[7:8], v15 offset0:48 offset1:50
	ds_read2st64_b32 v[9:10], v15 offset0:28 offset1:30
	;; [unrolled: 1-line block ×4, first 2 shown]
	s_waitcnt lgkmcnt(5)
	v_mul_f32_e32 v3, 0x40a00000, v3
	v_mul_f32_e32 v4, 0x40a00000, v4
	s_waitcnt lgkmcnt(4)
	v_fma_f32 v3, v5, 4.0, -v3
	v_fma_f32 v4, v6, 4.0, -v4
	s_waitcnt lgkmcnt(3)
	v_add_f32_e32 v3, v7, v3
	v_add_f32_e32 v4, v8, v4
	s_waitcnt lgkmcnt(2)
	v_mul_f32_e32 v5, 0x40a00000, v9
	v_mul_f32_e32 v6, 0x40a00000, v10
	ds_read2st64_b32 v[7:8], v15 offset0:32 offset1:34
	ds_read2st64_b32 v[9:10], v15 offset0:8 offset1:10
	;; [unrolled: 1-line block ×3, first 2 shown]
	s_waitcnt lgkmcnt(4)
	v_fma_f32 v5, v11, 4.0, -v5
	v_fma_f32 v6, v12, 4.0, -v6
	s_waitcnt lgkmcnt(2)
	v_mul_f32_e32 v7, 0x40a00000, v7
	v_mul_f32_e32 v8, 0x40a00000, v8
	s_waitcnt lgkmcnt(1)
	v_fma_f32 v7, v9, 4.0, -v7
	v_fma_f32 v8, v10, 4.0, -v8
	v_add_f32_e32 v5, v13, v5
	v_add_f32_e32 v6, v14, v6
	s_waitcnt lgkmcnt(0)
	v_add_f32_e32 v7, v15, v7
	v_add_f32_e32 v8, v16, v8
.LBB0_21:
	s_or_b64 exec, exec, s[4:5]
.LBB0_22:
	s_or_b64 exec, exec, s[0:1]
	v_mul_u32_u24_e32 v9, 0xa00, v1
	v_lshlrev_b32_e32 v10, 2, v0
	v_add3_u32 v2, v2, v9, v10
	v_cmp_lt_i32_e32 vcc, 2, v1
	s_barrier
	ds_write2st64_b32 v2, v3, v4 offset1:2
	ds_write2st64_b32 v2, v5, v6 offset0:4 offset1:6
	ds_write2st64_b32 v2, v7, v8 offset0:8 offset1:10
	s_waitcnt lgkmcnt(0)
	s_barrier
                                        ; implicit-def: $vgpr7
                                        ; implicit-def: $vgpr6
                                        ; implicit-def: $vgpr5
                                        ; implicit-def: $vgpr4
                                        ; implicit-def: $vgpr3
                                        ; implicit-def: $vgpr2
	s_and_saveexec_b64 s[0:1], vcc
	s_xor_b64 s[0:1], exec, s[0:1]
	s_cbranch_execz .LBB0_34
; %bb.23:
	v_cmp_lt_i32_e32 vcc, 3, v1
                                        ; implicit-def: $vgpr7
                                        ; implicit-def: $vgpr6
                                        ; implicit-def: $vgpr5
                                        ; implicit-def: $vgpr4
                                        ; implicit-def: $vgpr3
                                        ; implicit-def: $vgpr2
	s_and_saveexec_b64 s[4:5], vcc
	s_xor_b64 s[4:5], exec, s[4:5]
	s_cbranch_execz .LBB0_31
; %bb.24:
	v_cmp_lt_i32_e32 vcc, 4, v1
                                        ; implicit-def: $vgpr7
                                        ; implicit-def: $vgpr6
                                        ; implicit-def: $vgpr5
                                        ; implicit-def: $vgpr4
                                        ; implicit-def: $vgpr3
                                        ; implicit-def: $vgpr2
	s_and_saveexec_b64 s[8:9], vcc
	s_xor_b64 s[8:9], exec, s[8:9]
	s_cbranch_execz .LBB0_28
; %bb.25:
	v_cmp_ne_u32_e32 vcc, 5, v1
	s_and_saveexec_b64 s[10:11], vcc
	s_xor_b64 s[10:11], exec, s[10:11]
	s_or_saveexec_b64 s[10:11], s[10:11]
	v_mov_b32_e32 v7, 0
	v_mov_b32_e32 v6, 0
	;; [unrolled: 1-line block ×6, first 2 shown]
	s_xor_b64 exec, exec, s[10:11]
	s_cbranch_execz .LBB0_27
; %bb.26:
	v_lshl_add_u32 v12, v0, 2, 0
	ds_read2st64_b32 v[2:3], v12 offset0:2 offset1:6
	ds_read2st64_b32 v[4:5], v12 offset0:18 offset1:22
	;; [unrolled: 1-line block ×4, first 2 shown]
	s_waitcnt lgkmcnt(3)
	v_mul_f32_e32 v3, 0x40a00000, v3
	s_waitcnt lgkmcnt(2)
	v_mul_f32_e32 v4, 0x40a00000, v4
	v_fma_f32 v2, v2, 4.0, -v3
	s_waitcnt lgkmcnt(1)
	v_add_f32_e32 v2, v6, v2
	v_fma_f32 v3, v7, 4.0, -v4
	ds_read2st64_b32 v[6:7], v12 offset0:34 offset1:38
	ds_read2st64_b32 v[10:11], v12 offset0:42 offset1:46
	s_waitcnt lgkmcnt(2)
	v_mul_f32_e32 v4, 0x40a00000, v9
	v_fma_f32 v4, v8, 4.0, -v4
	ds_read2st64_b32 v[8:9], v12 offset0:50 offset1:54
	v_add_f32_e32 v3, v5, v3
	s_waitcnt lgkmcnt(1)
	v_mul_f32_e32 v5, 0x40a00000, v10
	v_add_f32_e32 v4, v6, v4
	v_fma_f32 v5, v7, 4.0, -v5
	ds_read2st64_b32 v[6:7], v12 offset0:58 offset1:62
	ds_read2st64_b32 v[12:13], v12 offset0:66 offset1:70
	s_waitcnt lgkmcnt(2)
	v_mul_f32_e32 v9, 0x40a00000, v9
	v_fma_f32 v8, v8, 4.0, -v9
	v_add_f32_e32 v5, v11, v5
	s_waitcnt lgkmcnt(1)
	v_add_f32_e32 v6, v6, v8
	s_waitcnt lgkmcnt(0)
	v_mul_f32_e32 v8, 0x40a00000, v12
	v_fma_f32 v7, v7, 4.0, -v8
	v_add_f32_e32 v7, v13, v7
.LBB0_27:
	s_or_b64 exec, exec, s[10:11]
.LBB0_28:
	s_andn2_saveexec_b64 s[8:9], s[8:9]
	s_cbranch_execz .LBB0_30
; %bb.29:
	v_lshl_add_u32 v12, v0, 2, 0
	ds_read2st64_b32 v[2:3], v12 offset0:2 offset1:4
	ds_read2st64_b32 v[4:5], v12 offset0:14 offset1:16
	ds_read2st64_b32 v[6:7], v12 offset0:6 offset1:8
	ds_read2st64_b32 v[8:9], v12 offset0:18 offset1:20
	s_waitcnt lgkmcnt(3)
	v_fma_f32 v2, v2, 2.0, -v3
	s_waitcnt lgkmcnt(2)
	v_fma_f32 v3, v4, 2.0, -v5
	s_waitcnt lgkmcnt(1)
	v_fmac_f32_e32 v2, -2.0, v6
	s_waitcnt lgkmcnt(0)
	v_fmac_f32_e32 v3, -2.0, v8
	v_add_f32_e32 v2, v7, v2
	ds_read2st64_b32 v[4:5], v12 offset0:26 offset1:28
	ds_read2st64_b32 v[6:7], v12 offset0:30 offset1:32
	v_add_f32_e32 v3, v9, v3
	ds_read2st64_b32 v[8:9], v12 offset0:38 offset1:40
	ds_read2st64_b32 v[10:11], v12 offset0:42 offset1:44
	s_waitcnt lgkmcnt(3)
	v_fma_f32 v4, v4, 2.0, -v5
	s_waitcnt lgkmcnt(2)
	v_fmac_f32_e32 v4, -2.0, v6
	s_waitcnt lgkmcnt(1)
	v_fma_f32 v5, v8, 2.0, -v9
	s_waitcnt lgkmcnt(0)
	v_fmac_f32_e32 v5, -2.0, v10
	v_add_f32_e32 v4, v7, v4
	ds_read2st64_b32 v[6:7], v12 offset0:50 offset1:52
	ds_read2st64_b32 v[8:9], v12 offset0:54 offset1:56
	v_add_f32_e32 v5, v11, v5
	ds_read2st64_b32 v[10:11], v12 offset0:62 offset1:64
	ds_read2st64_b32 v[12:13], v12 offset0:66 offset1:68
	s_waitcnt lgkmcnt(3)
	v_fma_f32 v6, v6, 2.0, -v7
	s_waitcnt lgkmcnt(2)
	v_fmac_f32_e32 v6, -2.0, v8
	s_waitcnt lgkmcnt(1)
	v_fma_f32 v7, v10, 2.0, -v11
	s_waitcnt lgkmcnt(0)
	v_fmac_f32_e32 v7, -2.0, v12
	v_add_f32_e32 v6, v9, v6
	v_add_f32_e32 v7, v13, v7
.LBB0_30:
	s_or_b64 exec, exec, s[8:9]
.LBB0_31:
	s_andn2_saveexec_b64 s[4:5], s[4:5]
	s_cbranch_execz .LBB0_33
; %bb.32:
	v_lshl_add_u32 v12, v0, 2, 0
	ds_read2st64_b32 v[2:3], v12 offset0:2 offset1:4
	ds_read2st64_b32 v[4:5], v12 offset0:14 offset1:16
	;; [unrolled: 1-line block ×4, first 2 shown]
	s_waitcnt lgkmcnt(3)
	v_fma_f32 v2, v2, -2.0, -v3
	s_waitcnt lgkmcnt(2)
	v_fma_f32 v3, v4, -2.0, -v5
	s_waitcnt lgkmcnt(1)
	v_fmac_f32_e32 v2, 2.0, v6
	s_waitcnt lgkmcnt(0)
	v_fmac_f32_e32 v3, 2.0, v8
	v_add_f32_e32 v2, v7, v2
	ds_read2st64_b32 v[4:5], v12 offset0:26 offset1:28
	ds_read2st64_b32 v[6:7], v12 offset0:30 offset1:32
	v_add_f32_e32 v3, v9, v3
	ds_read2st64_b32 v[8:9], v12 offset0:38 offset1:40
	ds_read2st64_b32 v[10:11], v12 offset0:42 offset1:44
	s_waitcnt lgkmcnt(3)
	v_fma_f32 v4, v4, -2.0, -v5
	s_waitcnt lgkmcnt(2)
	v_fmac_f32_e32 v4, 2.0, v6
	s_waitcnt lgkmcnt(1)
	v_fma_f32 v5, v8, -2.0, -v9
	s_waitcnt lgkmcnt(0)
	v_fmac_f32_e32 v5, 2.0, v10
	v_add_f32_e32 v4, v7, v4
	ds_read2st64_b32 v[6:7], v12 offset0:50 offset1:52
	ds_read2st64_b32 v[8:9], v12 offset0:54 offset1:56
	v_add_f32_e32 v5, v11, v5
	ds_read2st64_b32 v[10:11], v12 offset0:62 offset1:64
	ds_read2st64_b32 v[12:13], v12 offset0:66 offset1:68
	s_waitcnt lgkmcnt(3)
	v_fma_f32 v6, v6, -2.0, -v7
	s_waitcnt lgkmcnt(2)
	v_fmac_f32_e32 v6, 2.0, v8
	s_waitcnt lgkmcnt(1)
	v_fma_f32 v7, v10, -2.0, -v11
	s_waitcnt lgkmcnt(0)
	v_fmac_f32_e32 v7, 2.0, v12
	v_add_f32_e32 v6, v9, v6
	v_add_f32_e32 v7, v13, v7
.LBB0_33:
	s_or_b64 exec, exec, s[4:5]
.LBB0_34:
	s_andn2_saveexec_b64 s[0:1], s[0:1]
	s_cbranch_execz .LBB0_44
; %bb.35:
	v_cmp_lt_i32_e32 vcc, 0, v1
                                        ; implicit-def: $vgpr7
                                        ; implicit-def: $vgpr6
                                        ; implicit-def: $vgpr5
                                        ; implicit-def: $vgpr4
                                        ; implicit-def: $vgpr3
                                        ; implicit-def: $vgpr2
	s_and_saveexec_b64 s[4:5], vcc
	s_xor_b64 s[4:5], exec, s[4:5]
	s_cbranch_execz .LBB0_41
; %bb.36:
	v_cmp_lt_i32_e32 vcc, 1, v1
                                        ; implicit-def: $vgpr7
                                        ; implicit-def: $vgpr6
                                        ; implicit-def: $vgpr5
                                        ; implicit-def: $vgpr4
                                        ; implicit-def: $vgpr3
                                        ; implicit-def: $vgpr2
	s_and_saveexec_b64 s[8:9], vcc
	s_xor_b64 s[8:9], exec, s[8:9]
	s_cbranch_execz .LBB0_38
; %bb.37:
	v_lshl_add_u32 v13, v0, 2, 0
	ds_read2st64_b32 v[2:3], v13 offset0:2 offset1:4
	ds_read2st64_b32 v[4:5], v13 offset0:14 offset1:16
	;; [unrolled: 1-line block ×5, first 2 shown]
	s_waitcnt lgkmcnt(4)
	v_mul_f32_e32 v3, 4.0, v3
	v_fma_f32 v2, v2, 4.0, -v3
	s_waitcnt lgkmcnt(3)
	v_mul_f32_e32 v10, 4.0, v5
	s_waitcnt lgkmcnt(2)
	v_sub_f32_e32 v2, v2, v6
	ds_read2st64_b32 v[5:6], v13 offset0:26 offset1:28
	v_fma_f32 v3, v4, 4.0, -v10
	v_add_f32_e32 v2, v7, v2
	s_waitcnt lgkmcnt(2)
	v_sub_f32_e32 v3, v3, v8
	ds_read2st64_b32 v[7:8], v13 offset0:30 offset1:32
	v_add_f32_e32 v3, v9, v3
	s_waitcnt lgkmcnt(1)
	v_mul_f32_e32 v4, 4.0, v6
	ds_read2st64_b32 v[9:10], v13 offset0:38 offset1:40
	v_fma_f32 v4, v5, 4.0, -v4
	s_waitcnt lgkmcnt(1)
	v_sub_f32_e32 v4, v4, v7
	ds_read2st64_b32 v[5:6], v13 offset0:42 offset1:44
	v_add_f32_e32 v4, v8, v4
	ds_read2st64_b32 v[7:8], v13 offset0:50 offset1:52
	s_waitcnt lgkmcnt(2)
	v_mul_f32_e32 v10, 4.0, v10
	v_fma_f32 v9, v9, 4.0, -v10
	s_waitcnt lgkmcnt(1)
	v_sub_f32_e32 v5, v9, v5
	ds_read2st64_b32 v[9:10], v13 offset0:54 offset1:56
	v_add_f32_e32 v5, v6, v5
	s_waitcnt lgkmcnt(1)
	v_mul_f32_e32 v6, 4.0, v8
	v_fma_f32 v6, v7, 4.0, -v6
	ds_read2st64_b32 v[7:8], v13 offset0:66 offset1:68
	s_waitcnt lgkmcnt(1)
	v_sub_f32_e32 v6, v6, v9
	v_mul_f32_e32 v9, 4.0, v12
	v_fma_f32 v9, v11, 4.0, -v9
	v_add_f32_e32 v6, v10, v6
	s_waitcnt lgkmcnt(0)
	v_sub_f32_e32 v7, v9, v7
	v_add_f32_e32 v7, v8, v7
.LBB0_38:
	s_andn2_saveexec_b64 s[8:9], s[8:9]
	s_cbranch_execz .LBB0_40
; %bb.39:
	v_lshl_add_u32 v13, v0, 2, 0
	ds_read2st64_b32 v[2:3], v13 offset0:2 offset1:4
	ds_read2st64_b32 v[4:5], v13 offset0:14 offset1:16
	;; [unrolled: 1-line block ×5, first 2 shown]
	s_waitcnt lgkmcnt(4)
	v_mul_f32_e32 v3, -4.0, v3
	v_fmac_f32_e32 v3, -4.0, v2
	s_waitcnt lgkmcnt(3)
	v_mul_f32_e32 v10, -4.0, v5
	s_waitcnt lgkmcnt(2)
	v_add_f32_e32 v2, v6, v3
	ds_read2st64_b32 v[5:6], v13 offset0:26 offset1:28
	v_fmac_f32_e32 v10, -4.0, v4
	v_add_f32_e32 v2, v7, v2
	s_waitcnt lgkmcnt(2)
	v_add_f32_e32 v3, v8, v10
	ds_read2st64_b32 v[7:8], v13 offset0:30 offset1:32
	v_add_f32_e32 v3, v9, v3
	s_waitcnt lgkmcnt(1)
	v_mul_f32_e32 v4, -4.0, v6
	ds_read2st64_b32 v[9:10], v13 offset0:38 offset1:40
	v_fmac_f32_e32 v4, -4.0, v5
	s_waitcnt lgkmcnt(1)
	v_add_f32_e32 v4, v7, v4
	ds_read2st64_b32 v[5:6], v13 offset0:42 offset1:44
	v_add_f32_e32 v4, v8, v4
	ds_read2st64_b32 v[7:8], v13 offset0:50 offset1:52
	s_waitcnt lgkmcnt(2)
	v_mul_f32_e32 v10, -4.0, v10
	v_fmac_f32_e32 v10, -4.0, v9
	s_waitcnt lgkmcnt(1)
	v_add_f32_e32 v5, v5, v10
	ds_read2st64_b32 v[9:10], v13 offset0:54 offset1:56
	v_add_f32_e32 v5, v6, v5
	s_waitcnt lgkmcnt(1)
	v_mul_f32_e32 v6, -4.0, v8
	v_fmac_f32_e32 v6, -4.0, v7
	ds_read2st64_b32 v[7:8], v13 offset0:66 offset1:68
	s_waitcnt lgkmcnt(1)
	v_add_f32_e32 v6, v9, v6
	v_mul_f32_e32 v9, -4.0, v12
	v_fmac_f32_e32 v9, -4.0, v11
	v_add_f32_e32 v6, v10, v6
	s_waitcnt lgkmcnt(0)
	v_add_f32_e32 v7, v7, v9
	v_add_f32_e32 v7, v8, v7
.LBB0_40:
	s_or_b64 exec, exec, s[8:9]
.LBB0_41:
	s_andn2_saveexec_b64 s[4:5], s[4:5]
	s_cbranch_execz .LBB0_43
; %bb.42:
	v_lshl_add_u32 v12, v0, 2, 0
	ds_read2st64_b32 v[2:3], v12 offset1:4
	ds_read2st64_b32 v[4:5], v12 offset0:16 offset1:20
	ds_read2st64_b32 v[6:7], v12 offset0:8 offset1:12
	;; [unrolled: 1-line block ×3, first 2 shown]
	s_waitcnt lgkmcnt(3)
	v_mul_f32_e32 v3, 0x40a00000, v3
	s_waitcnt lgkmcnt(2)
	v_mul_f32_e32 v4, 0x40a00000, v4
	v_fma_f32 v2, v2, 4.0, -v3
	s_waitcnt lgkmcnt(1)
	v_add_f32_e32 v2, v6, v2
	v_fma_f32 v3, v7, 4.0, -v4
	ds_read2st64_b32 v[6:7], v12 offset0:32 offset1:36
	ds_read2st64_b32 v[10:11], v12 offset0:40 offset1:44
	s_waitcnt lgkmcnt(2)
	v_mul_f32_e32 v4, 0x40a00000, v9
	v_fma_f32 v4, v8, 4.0, -v4
	ds_read2st64_b32 v[8:9], v12 offset0:48 offset1:52
	v_add_f32_e32 v3, v5, v3
	s_waitcnt lgkmcnt(1)
	v_mul_f32_e32 v5, 0x40a00000, v10
	v_add_f32_e32 v4, v6, v4
	v_fma_f32 v5, v7, 4.0, -v5
	ds_read2st64_b32 v[6:7], v12 offset0:56 offset1:60
	ds_read2st64_b32 v[12:13], v12 offset0:64 offset1:68
	s_waitcnt lgkmcnt(2)
	v_mul_f32_e32 v9, 0x40a00000, v9
	v_fma_f32 v8, v8, 4.0, -v9
	v_add_f32_e32 v5, v11, v5
	s_waitcnt lgkmcnt(1)
	v_add_f32_e32 v6, v6, v8
	s_waitcnt lgkmcnt(0)
	v_mul_f32_e32 v8, 0x40a00000, v12
	v_fma_f32 v7, v7, 4.0, -v8
	v_add_f32_e32 v7, v13, v7
.LBB0_43:
	s_or_b64 exec, exec, s[4:5]
.LBB0_44:
	s_or_b64 exec, exec, s[0:1]
	s_lshl_b32 s0, s6, 10
	s_lshl_b32 s1, s7, 8
	s_add_i32 s0, s12, s0
	s_add_i32 s0, s0, s1
	v_lshlrev_b32_e32 v1, 12, v1
	v_add3_u32 v0, s0, v0, v1
	v_mov_b32_e32 v1, 0
	v_lshlrev_b64 v[8:9], 2, v[0:1]
	v_mov_b32_e32 v10, s3
	v_add_co_u32_e32 v8, vcc, s2, v8
	v_addc_co_u32_e32 v9, vcc, v10, v9, vcc
	s_barrier
	global_store_dword v[8:9], v2, off
	v_add_u32_e32 v8, 0x6000, v0
	v_mov_b32_e32 v9, v1
	v_lshlrev_b64 v[8:9], 2, v[8:9]
	v_mov_b32_e32 v2, s3
	v_add_co_u32_e32 v8, vcc, s2, v8
	v_addc_co_u32_e32 v9, vcc, v2, v9, vcc
	global_store_dword v[8:9], v3, off
	v_add_u32_e32 v2, 0xc000, v0
	v_mov_b32_e32 v3, v1
	v_lshlrev_b64 v[2:3], 2, v[2:3]
	v_mov_b32_e32 v8, s3
	v_add_co_u32_e32 v2, vcc, s2, v2
	v_addc_co_u32_e32 v3, vcc, v8, v3, vcc
	;; [unrolled: 7-line block ×3, first 2 shown]
	global_store_dword v[2:3], v5, off
	v_add_u32_e32 v2, 0x18000, v0
	v_mov_b32_e32 v3, v1
	v_lshlrev_b64 v[2:3], 2, v[2:3]
	v_add_u32_e32 v0, 0x1e000, v0
	v_add_co_u32_e32 v2, vcc, s2, v2
	v_lshlrev_b64 v[0:1], 2, v[0:1]
	v_addc_co_u32_e32 v3, vcc, v4, v3, vcc
	global_store_dword v[2:3], v6, off
	v_mov_b32_e32 v2, s3
	v_add_co_u32_e32 v0, vcc, s2, v0
	v_addc_co_u32_e32 v1, vcc, v2, v1, vcc
	global_store_dword v[0:1], v7, off
	s_endpgm
	.section	.rodata,"a",@progbits
	.p2align	6, 0x0
	.amdhsa_kernel _Z24kernel_256_winograd_BtdBPKfPf
		.amdhsa_group_segment_fixed_size 0
		.amdhsa_private_segment_fixed_size 0
		.amdhsa_kernarg_size 16
		.amdhsa_user_sgpr_count 6
		.amdhsa_user_sgpr_private_segment_buffer 1
		.amdhsa_user_sgpr_dispatch_ptr 0
		.amdhsa_user_sgpr_queue_ptr 0
		.amdhsa_user_sgpr_kernarg_segment_ptr 1
		.amdhsa_user_sgpr_dispatch_id 0
		.amdhsa_user_sgpr_flat_scratch_init 0
		.amdhsa_user_sgpr_private_segment_size 0
		.amdhsa_uses_dynamic_stack 0
		.amdhsa_system_sgpr_private_segment_wavefront_offset 0
		.amdhsa_system_sgpr_workgroup_id_x 1
		.amdhsa_system_sgpr_workgroup_id_y 1
		.amdhsa_system_sgpr_workgroup_id_z 1
		.amdhsa_system_sgpr_workgroup_info 0
		.amdhsa_system_vgpr_workitem_id 1
		.amdhsa_next_free_vgpr 20
		.amdhsa_next_free_sgpr 13
		.amdhsa_reserve_vcc 1
		.amdhsa_reserve_flat_scratch 0
		.amdhsa_float_round_mode_32 0
		.amdhsa_float_round_mode_16_64 0
		.amdhsa_float_denorm_mode_32 3
		.amdhsa_float_denorm_mode_16_64 3
		.amdhsa_dx10_clamp 1
		.amdhsa_ieee_mode 1
		.amdhsa_fp16_overflow 0
		.amdhsa_exception_fp_ieee_invalid_op 0
		.amdhsa_exception_fp_denorm_src 0
		.amdhsa_exception_fp_ieee_div_zero 0
		.amdhsa_exception_fp_ieee_overflow 0
		.amdhsa_exception_fp_ieee_underflow 0
		.amdhsa_exception_fp_ieee_inexact 0
		.amdhsa_exception_int_div_zero 0
	.end_amdhsa_kernel
	.text
.Lfunc_end0:
	.size	_Z24kernel_256_winograd_BtdBPKfPf, .Lfunc_end0-_Z24kernel_256_winograd_BtdBPKfPf
                                        ; -- End function
	.set _Z24kernel_256_winograd_BtdBPKfPf.num_vgpr, 20
	.set _Z24kernel_256_winograd_BtdBPKfPf.num_agpr, 0
	.set _Z24kernel_256_winograd_BtdBPKfPf.numbered_sgpr, 13
	.set _Z24kernel_256_winograd_BtdBPKfPf.num_named_barrier, 0
	.set _Z24kernel_256_winograd_BtdBPKfPf.private_seg_size, 0
	.set _Z24kernel_256_winograd_BtdBPKfPf.uses_vcc, 1
	.set _Z24kernel_256_winograd_BtdBPKfPf.uses_flat_scratch, 0
	.set _Z24kernel_256_winograd_BtdBPKfPf.has_dyn_sized_stack, 0
	.set _Z24kernel_256_winograd_BtdBPKfPf.has_recursion, 0
	.set _Z24kernel_256_winograd_BtdBPKfPf.has_indirect_call, 0
	.section	.AMDGPU.csdata,"",@progbits
; Kernel info:
; codeLenInByte = 3864
; TotalNumSgprs: 17
; NumVgprs: 20
; ScratchSize: 0
; MemoryBound: 0
; FloatMode: 240
; IeeeMode: 1
; LDSByteSize: 0 bytes/workgroup (compile time only)
; SGPRBlocks: 2
; VGPRBlocks: 4
; NumSGPRsForWavesPerEU: 17
; NumVGPRsForWavesPerEU: 20
; Occupancy: 10
; WaveLimiterHint : 1
; COMPUTE_PGM_RSRC2:SCRATCH_EN: 0
; COMPUTE_PGM_RSRC2:USER_SGPR: 6
; COMPUTE_PGM_RSRC2:TRAP_HANDLER: 0
; COMPUTE_PGM_RSRC2:TGID_X_EN: 1
; COMPUTE_PGM_RSRC2:TGID_Y_EN: 1
; COMPUTE_PGM_RSRC2:TGID_Z_EN: 1
; COMPUTE_PGM_RSRC2:TIDIG_COMP_CNT: 1
	.text
	.protected	_Z24kernel_256_winograd_AtIAPKfS0_S0_Pf ; -- Begin function _Z24kernel_256_winograd_AtIAPKfS0_S0_Pf
	.globl	_Z24kernel_256_winograd_AtIAPKfS0_S0_Pf
	.p2align	8
	.type	_Z24kernel_256_winograd_AtIAPKfS0_S0_Pf,@function
_Z24kernel_256_winograd_AtIAPKfS0_S0_Pf: ; @_Z24kernel_256_winograd_AtIAPKfS0_S0_Pf
; %bb.0:
	s_lshl_b32 s1, s7, 8
	s_lshl_b32 s0, s6, 10
	s_add_i32 s1, s1, s8
	s_load_dwordx8 s[12:19], s[4:5], 0x0
	v_mad_u32_u24 v4, v0, 6, v1
	s_add_i32 s1, s1, s0
	v_lshl_add_u32 v2, v4, 12, s1
	v_ashrrev_i32_e32 v3, 31, v2
	v_lshlrev_b64 v[2:3], 2, v[2:3]
	s_waitcnt lgkmcnt(0)
	v_mov_b32_e32 v5, s13
	v_add_co_u32_e32 v2, vcc, s12, v2
	v_addc_co_u32_e32 v3, vcc, v5, v3, vcc
	global_load_dword v6, v[2:3], off
	s_ashr_i32 s9, s8, 31
	s_lshl_b64 s[0:1], s[8:9], 2
	s_add_u32 s2, s14, s0
	s_addc_u32 s3, s15, s1
	s_add_u32 s0, s16, s0
	s_addc_u32 s1, s17, s1
	s_load_dword s2, s[2:3], 0x0
	v_mov_b32_e32 v7, 0
	s_load_dword s0, s[0:1], 0x0
	v_mul_u32_u24_e32 v2, 6, v0
	v_lshl_add_u32 v3, v4, 2, 8
	s_waitcnt lgkmcnt(0)
	v_mov_b32_e32 v4, s2
	v_cmp_lt_i32_e32 vcc, 1, v0
	v_mov_b32_e32 v5, s0
	ds_write_b64 v7, v[4:5]
	s_waitcnt vmcnt(0)
	ds_write_b32 v3, v6
	s_waitcnt lgkmcnt(0)
	s_barrier
                                        ; implicit-def: $vgpr4
	s_and_saveexec_b64 s[0:1], vcc
	s_xor_b64 s[0:1], exec, s[0:1]
	s_cbranch_execz .LBB1_8
; %bb.1:
	v_cmp_lt_i32_e32 vcc, 2, v0
                                        ; implicit-def: $vgpr4
	s_and_saveexec_b64 s[2:3], vcc
	s_xor_b64 s[2:3], exec, s[2:3]
	s_cbranch_execz .LBB1_5
; %bb.2:
	v_cmp_eq_u32_e32 vcc, 3, v0
	v_mov_b32_e32 v4, 0
	s_and_saveexec_b64 s[4:5], vcc
	s_cbranch_execz .LBB1_4
; %bb.3:
	v_lshl_add_u32 v8, v1, 2, 8
	ds_read2_b32 v[4:5], v8 offset0:6 offset1:12
	ds_read2_b32 v[6:7], v8 offset0:18 offset1:24
	ds_read_b32 v8, v8 offset:120
	s_waitcnt lgkmcnt(2)
	v_sub_f32_e32 v4, v4, v5
	s_waitcnt lgkmcnt(1)
	v_fmac_f32_e32 v4, 0x41000000, v6
	v_fmac_f32_e32 v4, 0xc1000000, v7
	s_waitcnt lgkmcnt(0)
	v_add_f32_e32 v4, v8, v4
.LBB1_4:
	s_or_b64 exec, exec, s[4:5]
.LBB1_5:
	s_andn2_saveexec_b64 s[2:3], s[2:3]
	s_cbranch_execz .LBB1_7
; %bb.6:
	v_lshl_add_u32 v6, v1, 2, 8
	ds_read2_b32 v[4:5], v6 offset0:6 offset1:12
	ds_read2_b32 v[6:7], v6 offset0:18 offset1:24
	s_waitcnt lgkmcnt(1)
	v_add_f32_e32 v4, v4, v5
	s_waitcnt lgkmcnt(0)
	v_fmac_f32_e32 v4, 4.0, v6
	v_fmac_f32_e32 v4, 4.0, v7
.LBB1_7:
	s_or_b64 exec, exec, s[2:3]
.LBB1_8:
	s_andn2_saveexec_b64 s[0:1], s[0:1]
	s_cbranch_execz .LBB1_14
; %bb.9:
	v_cmp_lt_i32_e32 vcc, 0, v0
	v_lshl_add_u32 v5, v1, 2, 8
                                        ; implicit-def: $vgpr4
	s_and_saveexec_b64 s[2:3], vcc
	s_xor_b64 s[2:3], exec, s[2:3]
	s_cbranch_execz .LBB1_11
; %bb.10:
	ds_read2_b32 v[6:7], v5 offset0:6 offset1:12
	ds_read2_b32 v[8:9], v5 offset0:18 offset1:24
                                        ; implicit-def: $vgpr5
	s_waitcnt lgkmcnt(1)
	v_sub_f32_e32 v4, v6, v7
	s_waitcnt lgkmcnt(0)
	v_fmac_f32_e32 v4, 2.0, v8
	v_fmac_f32_e32 v4, -2.0, v9
.LBB1_11:
	s_andn2_saveexec_b64 s[2:3], s[2:3]
	s_cbranch_execz .LBB1_13
; %bb.12:
	ds_read2_b32 v[6:7], v5 offset1:6
	ds_read2_b32 v[8:9], v5 offset0:12 offset1:18
	ds_read_b32 v4, v5 offset:96
	s_waitcnt lgkmcnt(2)
	v_add_f32_e32 v5, v6, v7
	s_waitcnt lgkmcnt(1)
	v_add_f32_e32 v5, v5, v8
	v_add_f32_e32 v5, v5, v9
	s_waitcnt lgkmcnt(0)
	v_add_f32_e32 v4, v5, v4
.LBB1_13:
	s_or_b64 exec, exec, s[2:3]
.LBB1_14:
	s_or_b64 exec, exec, s[0:1]
	v_cmp_gt_u32_e32 vcc, 4, v0
	s_barrier
	ds_write_b32 v3, v4
	s_waitcnt lgkmcnt(0)
	s_barrier
	s_and_saveexec_b64 s[0:1], vcc
	s_cbranch_execz .LBB1_20
; %bb.15:
	s_cmp_lg_u32 s6, 3
	s_cselect_b64 s[0:1], -1, 0
	v_cmp_gt_u32_e32 vcc, 2, v0
	s_or_b64 s[0:1], s[0:1], vcc
	s_and_b64 exec, exec, s[0:1]
	s_cbranch_execz .LBB1_20
; %bb.16:
	v_cmp_lt_i32_e32 vcc, 1, v1
	s_mov_b64 s[2:3], 0
                                        ; implicit-def: $vgpr4
                                        ; implicit-def: $vgpr3
	s_and_saveexec_b64 s[0:1], vcc
	s_xor_b64 s[0:1], exec, s[0:1]
	s_cbranch_execnz .LBB1_21
; %bb.17:
	s_andn2_saveexec_b64 s[0:1], s[0:1]
	s_cbranch_execnz .LBB1_33
.LBB1_18:
	s_or_b64 exec, exec, s[0:1]
	s_and_b64 exec, exec, s[2:3]
	s_cbranch_execz .LBB1_20
.LBB1_19:
	v_mov_b32_e32 v1, 0
	ds_read_b32 v1, v1
	s_lshl_b32 s0, s7, 10
	s_lshl_b32 s1, s6, 14
	s_add_i32 s0, s0, s8
	v_lshl_add_u32 v0, v0, 12, s1
	s_waitcnt lgkmcnt(0)
	v_add_f32_e32 v1, v1, v3
	v_max_f32_e32 v2, 0, v1
	v_add_u32_e32 v1, s0, v4
	s_movk_i32 s0, 0x1000
	v_add3_u32 v0, v0, v1, s0
	v_ashrrev_i32_e32 v1, 31, v0
	v_lshlrev_b64 v[0:1], 2, v[0:1]
	v_mov_b32_e32 v3, s19
	v_add_co_u32_e32 v0, vcc, s18, v0
	v_addc_co_u32_e32 v1, vcc, v3, v1, vcc
	global_store_dword v[0:1], v2, off
.LBB1_20:
	s_endpgm
.LBB1_21:
	v_cmp_lt_i32_e32 vcc, 2, v1
                                        ; implicit-def: $vgpr3
	s_and_saveexec_b64 s[4:5], vcc
	s_xor_b64 s[4:5], exec, s[4:5]
	s_cbranch_execz .LBB1_28
; %bb.22:
	v_cmp_eq_u32_e32 vcc, 3, v1
	s_mov_b64 s[10:11], 0
                                        ; implicit-def: $vgpr3
	s_and_saveexec_b64 s[2:3], vcc
	s_cbranch_execz .LBB1_27
; %bb.23:
	s_cmp_lg_u32 s7, 3
	s_cbranch_scc0 .LBB1_25
; %bb.24:
	v_lshl_add_u32 v5, v2, 2, 8
	ds_read2_b32 v[1:2], v5 offset0:1 offset1:2
	ds_read2_b32 v[3:4], v5 offset0:3 offset1:4
	v_mov_b32_e32 v6, 0
	ds_read_b32 v5, v5 offset:20
	ds_read_b32 v6, v6 offset:4
	s_mov_b64 s[10:11], -1
	s_waitcnt lgkmcnt(3)
	v_sub_f32_e32 v1, v1, v2
	s_waitcnt lgkmcnt(2)
	v_fmac_f32_e32 v1, 0x41000000, v3
	v_fmac_f32_e32 v1, 0xc1000000, v4
	s_waitcnt lgkmcnt(1)
	v_add_f32_e32 v1, v5, v1
	s_waitcnt lgkmcnt(0)
	v_mul_f32_e32 v3, v6, v1
	s_branch .LBB1_26
.LBB1_25:
                                        ; implicit-def: $vgpr3
.LBB1_26:
	s_and_b64 s[10:11], s[10:11], exec
.LBB1_27:
	s_or_b64 exec, exec, s[2:3]
	s_and_b64 s[2:3], s[10:11], exec
                                        ; implicit-def: $vgpr2
.LBB1_28:
	s_or_saveexec_b64 s[4:5], s[4:5]
	v_mov_b32_e32 v4, 0x400
	s_xor_b64 exec, exec, s[4:5]
	s_cbranch_execz .LBB1_32
; %bb.29:
	s_cmp_lg_u32 s7, 3
	s_mov_b64 s[10:11], s[2:3]
                                        ; implicit-def: $vgpr3
	s_cbranch_scc0 .LBB1_31
; %bb.30:
	v_lshl_add_u32 v3, v2, 2, 8
	ds_read2_b32 v[1:2], v3 offset0:1 offset1:2
	ds_read2_b32 v[3:4], v3 offset0:3 offset1:4
	v_mov_b32_e32 v5, 0
	ds_read_b32 v5, v5 offset:4
	s_or_b64 s[10:11], s[2:3], exec
	s_waitcnt lgkmcnt(2)
	v_add_f32_e32 v1, v1, v2
	s_waitcnt lgkmcnt(1)
	v_fmac_f32_e32 v1, 4.0, v3
	v_fmac_f32_e32 v1, 4.0, v4
	s_waitcnt lgkmcnt(0)
	v_mul_f32_e32 v3, v5, v1
.LBB1_31:
	s_andn2_b64 s[2:3], s[2:3], exec
	s_and_b64 s[10:11], s[10:11], exec
	v_mov_b32_e32 v4, 0x300
	s_or_b64 s[2:3], s[2:3], s[10:11]
.LBB1_32:
	s_or_b64 exec, exec, s[4:5]
	s_and_b64 s[2:3], s[2:3], exec
                                        ; implicit-def: $vgpr1
                                        ; implicit-def: $vgpr2
	s_andn2_saveexec_b64 s[0:1], s[0:1]
	s_cbranch_execz .LBB1_18
.LBB1_33:
	v_cmp_lt_i32_e32 vcc, 0, v1
	v_lshl_add_u32 v1, v2, 2, 8
                                        ; implicit-def: $vgpr3
	s_and_saveexec_b64 s[4:5], vcc
	s_xor_b64 s[4:5], exec, s[4:5]
	s_cbranch_execz .LBB1_35
; %bb.34:
	ds_read2_b32 v[2:3], v1 offset0:1 offset1:2
	ds_read2_b32 v[4:5], v1 offset0:3 offset1:4
	v_mov_b32_e32 v1, 0
	ds_read_b32 v1, v1 offset:4
	s_waitcnt lgkmcnt(2)
	v_sub_f32_e32 v2, v2, v3
	s_waitcnt lgkmcnt(1)
	v_fmac_f32_e32 v2, 2.0, v4
	v_fmac_f32_e32 v2, -2.0, v5
	s_waitcnt lgkmcnt(0)
	v_mul_f32_e32 v3, v1, v2
                                        ; implicit-def: $vgpr1
.LBB1_35:
	s_or_saveexec_b64 s[4:5], s[4:5]
	v_mov_b32_e32 v4, 0x200
	s_xor_b64 exec, exec, s[4:5]
	s_cbranch_execz .LBB1_37
; %bb.36:
	ds_read2_b32 v[2:3], v1 offset1:1
	ds_read2_b32 v[4:5], v1 offset0:2 offset1:3
	v_mov_b32_e32 v6, 0
	ds_read_b32 v1, v1 offset:16
	ds_read_b32 v6, v6 offset:4
	s_waitcnt lgkmcnt(3)
	v_add_f32_e32 v2, v2, v3
	s_waitcnt lgkmcnt(2)
	v_add_f32_e32 v2, v2, v4
	v_add_f32_e32 v2, v2, v5
	s_waitcnt lgkmcnt(1)
	v_add_f32_e32 v1, v2, v1
	s_waitcnt lgkmcnt(0)
	v_mul_f32_e32 v3, v6, v1
	v_mov_b32_e32 v4, 0x100
.LBB1_37:
	s_or_b64 exec, exec, s[4:5]
	s_or_b64 s[2:3], s[2:3], exec
	s_or_b64 exec, exec, s[0:1]
	s_and_b64 exec, exec, s[2:3]
	s_cbranch_execnz .LBB1_19
	s_branch .LBB1_20
	.section	.rodata,"a",@progbits
	.p2align	6, 0x0
	.amdhsa_kernel _Z24kernel_256_winograd_AtIAPKfS0_S0_Pf
		.amdhsa_group_segment_fixed_size 8
		.amdhsa_private_segment_fixed_size 0
		.amdhsa_kernarg_size 32
		.amdhsa_user_sgpr_count 6
		.amdhsa_user_sgpr_private_segment_buffer 1
		.amdhsa_user_sgpr_dispatch_ptr 0
		.amdhsa_user_sgpr_queue_ptr 0
		.amdhsa_user_sgpr_kernarg_segment_ptr 1
		.amdhsa_user_sgpr_dispatch_id 0
		.amdhsa_user_sgpr_flat_scratch_init 0
		.amdhsa_user_sgpr_private_segment_size 0
		.amdhsa_uses_dynamic_stack 0
		.amdhsa_system_sgpr_private_segment_wavefront_offset 0
		.amdhsa_system_sgpr_workgroup_id_x 1
		.amdhsa_system_sgpr_workgroup_id_y 1
		.amdhsa_system_sgpr_workgroup_id_z 1
		.amdhsa_system_sgpr_workgroup_info 0
		.amdhsa_system_vgpr_workitem_id 1
		.amdhsa_next_free_vgpr 10
		.amdhsa_next_free_sgpr 20
		.amdhsa_reserve_vcc 1
		.amdhsa_reserve_flat_scratch 0
		.amdhsa_float_round_mode_32 0
		.amdhsa_float_round_mode_16_64 0
		.amdhsa_float_denorm_mode_32 3
		.amdhsa_float_denorm_mode_16_64 3
		.amdhsa_dx10_clamp 1
		.amdhsa_ieee_mode 1
		.amdhsa_fp16_overflow 0
		.amdhsa_exception_fp_ieee_invalid_op 0
		.amdhsa_exception_fp_denorm_src 0
		.amdhsa_exception_fp_ieee_div_zero 0
		.amdhsa_exception_fp_ieee_overflow 0
		.amdhsa_exception_fp_ieee_underflow 0
		.amdhsa_exception_fp_ieee_inexact 0
		.amdhsa_exception_int_div_zero 0
	.end_amdhsa_kernel
	.text
.Lfunc_end1:
	.size	_Z24kernel_256_winograd_AtIAPKfS0_S0_Pf, .Lfunc_end1-_Z24kernel_256_winograd_AtIAPKfS0_S0_Pf
                                        ; -- End function
	.set _Z24kernel_256_winograd_AtIAPKfS0_S0_Pf.num_vgpr, 10
	.set _Z24kernel_256_winograd_AtIAPKfS0_S0_Pf.num_agpr, 0
	.set _Z24kernel_256_winograd_AtIAPKfS0_S0_Pf.numbered_sgpr, 20
	.set _Z24kernel_256_winograd_AtIAPKfS0_S0_Pf.num_named_barrier, 0
	.set _Z24kernel_256_winograd_AtIAPKfS0_S0_Pf.private_seg_size, 0
	.set _Z24kernel_256_winograd_AtIAPKfS0_S0_Pf.uses_vcc, 1
	.set _Z24kernel_256_winograd_AtIAPKfS0_S0_Pf.uses_flat_scratch, 0
	.set _Z24kernel_256_winograd_AtIAPKfS0_S0_Pf.has_dyn_sized_stack, 0
	.set _Z24kernel_256_winograd_AtIAPKfS0_S0_Pf.has_recursion, 0
	.set _Z24kernel_256_winograd_AtIAPKfS0_S0_Pf.has_indirect_call, 0
	.section	.AMDGPU.csdata,"",@progbits
; Kernel info:
; codeLenInByte = 1164
; TotalNumSgprs: 24
; NumVgprs: 10
; ScratchSize: 0
; MemoryBound: 0
; FloatMode: 240
; IeeeMode: 1
; LDSByteSize: 8 bytes/workgroup (compile time only)
; SGPRBlocks: 2
; VGPRBlocks: 2
; NumSGPRsForWavesPerEU: 24
; NumVGPRsForWavesPerEU: 10
; Occupancy: 10
; WaveLimiterHint : 0
; COMPUTE_PGM_RSRC2:SCRATCH_EN: 0
; COMPUTE_PGM_RSRC2:USER_SGPR: 6
; COMPUTE_PGM_RSRC2:TRAP_HANDLER: 0
; COMPUTE_PGM_RSRC2:TGID_X_EN: 1
; COMPUTE_PGM_RSRC2:TGID_Y_EN: 1
; COMPUTE_PGM_RSRC2:TGID_Z_EN: 1
; COMPUTE_PGM_RSRC2:TIDIG_COMP_CNT: 1
	.text
	.protected	_Z27kernel_256_OuterProduct_256PKfS0_Pf ; -- Begin function _Z27kernel_256_OuterProduct_256PKfS0_Pf
	.globl	_Z27kernel_256_OuterProduct_256PKfS0_Pf
	.p2align	8
	.type	_Z27kernel_256_OuterProduct_256PKfS0_Pf,@function
_Z27kernel_256_OuterProduct_256PKfS0_Pf: ; @_Z27kernel_256_OuterProduct_256PKfS0_Pf
; %bb.0:
	s_load_dwordx4 s[0:3], s[4:5], 0x0
	s_load_dwordx2 s[8:9], s[4:5], 0x10
	s_lshl_b32 s4, s6, 12
	s_lshl_b32 s5, s7, 11
	v_lshl_add_u32 v8, v1, 8, v0
	s_add_i32 s4, s4, s5
	v_add_u32_e32 v2, s4, v8
	v_ashrrev_i32_e32 v3, 31, v2
	v_lshlrev_b64 v[2:3], 2, v[2:3]
	s_waitcnt lgkmcnt(0)
	v_mov_b32_e32 v5, s1
	v_add_co_u32_e32 v4, vcc, s0, v2
	v_addc_co_u32_e32 v5, vcc, v5, v3, vcc
	s_movk_i32 s0, 0x1000
	v_add_co_u32_e32 v6, vcc, s0, v4
	v_addc_co_u32_e32 v7, vcc, 0, v5, vcc
	global_load_dword v9, v[4:5], off
	global_load_dword v10, v[6:7], off
	v_mov_b32_e32 v4, 0
	s_mov_b32 s0, 0
	v_lshl_add_u32 v16, v0, 2, 0
	v_lshl_add_u32 v17, v1, 10, 0
	;; [unrolled: 1-line block ×4, first 2 shown]
	v_mov_b32_e32 v19, s3
	ds_write2st64_b32 v18, v4, v4 offset0:160 offset1:176
	s_waitcnt vmcnt(0)
	ds_write2st64_b32 v18, v9, v10 offset1:16
.LBB2_1:                                ; =>This Inner Loop Header: Depth=1
	v_ashrrev_i32_e32 v1, 31, v0
	v_lshlrev_b64 v[4:5], 2, v[0:1]
	v_add_u32_e32 v0, 0x2000, v0
	v_add_co_u32_e32 v4, vcc, s2, v4
	v_addc_co_u32_e32 v5, vcc, v19, v5, vcc
	v_add_co_u32_e32 v6, vcc, 0x1000, v4
	v_addc_co_u32_e32 v7, vcc, 0, v5, vcc
	;; [unrolled: 2-line block ×8, first 2 shown]
	global_load_dword v1, v[4:5], off
	global_load_dword v24, v[6:7], off
	;; [unrolled: 1-line block ×3, first 2 shown]
	v_add_u32_e32 v6, s0, v17
	global_load_dword v4, v[10:11], off
	global_load_dword v5, v[12:13], off
	;; [unrolled: 1-line block ×5, first 2 shown]
	v_add_u32_e32 v26, 0x1000, v6
	v_add_u32_e32 v27, 0x1008, v6
	v_add_u32_e32 v15, 0x1010, v6
	v_add_u32_e32 v20, 0x1018, v6
	s_addk_i32 s0, 0x80
	s_cmpk_eq_i32 s0, 0x400
	s_waitcnt vmcnt(6)
	ds_write2st64_b32 v18, v1, v24 offset0:32 offset1:48
	s_waitcnt vmcnt(4)
	ds_write2st64_b32 v18, v25, v4 offset0:64 offset1:80
	;; [unrolled: 2-line block ×4, first 2 shown]
	s_waitcnt lgkmcnt(0)
	s_barrier
	ds_read2st64_b32 v[4:5], v16 offset0:32 offset1:36
	ds_read2_b32 v[7:8], v6 offset1:1
	ds_read2_b32 v[9:10], v6 offset0:2 offset1:3
	ds_read2_b32 v[11:12], v6 offset0:4 offset1:5
	;; [unrolled: 1-line block ×3, first 2 shown]
	s_waitcnt lgkmcnt(3)
	v_fma_f32 v1, v7, v4, 0
	v_fmac_f32_e32 v1, v8, v5
	ds_read2_b32 v[7:8], v26 offset1:1
	ds_read2_b32 v[21:22], v27 offset1:1
	;; [unrolled: 1-line block ×4, first 2 shown]
	v_add_u32_e32 v15, 0x1020, v6
	s_waitcnt lgkmcnt(3)
	v_fma_f32 v20, v4, v7, 0
	v_fmac_f32_e32 v20, v5, v8
	ds_read2st64_b32 v[4:5], v16 offset0:40 offset1:44
	ds_read2st64_b32 v[7:8], v16 offset0:56 offset1:60
	s_waitcnt lgkmcnt(1)
	v_fmac_f32_e32 v1, v9, v4
	v_fmac_f32_e32 v20, v4, v21
	;; [unrolled: 1-line block ×4, first 2 shown]
	ds_read2st64_b32 v[4:5], v16 offset0:48 offset1:52
	v_add_u32_e32 v21, 0x1028, v6
	s_waitcnt lgkmcnt(0)
	v_fmac_f32_e32 v1, v11, v4
	v_fmac_f32_e32 v20, v4, v23
	v_fmac_f32_e32 v1, v12, v5
	v_fmac_f32_e32 v20, v5, v24
	ds_read2_b32 v[4:5], v6 offset0:8 offset1:9
	ds_read2st64_b32 v[9:10], v16 offset0:64 offset1:68
	v_fmac_f32_e32 v1, v13, v7
	v_fmac_f32_e32 v1, v14, v8
	;; [unrolled: 1-line block ×3, first 2 shown]
	v_add_u32_e32 v23, 0x1030, v6
	s_waitcnt lgkmcnt(0)
	v_fmac_f32_e32 v1, v4, v9
	v_add_u32_e32 v25, 0x1038, v6
	ds_read2_b32 v[11:12], v6 offset0:10 offset1:11
	v_fmac_f32_e32 v20, v8, v26
	ds_read2_b32 v[7:8], v6 offset0:12 offset1:13
	ds_read2_b32 v[13:14], v6 offset0:14 offset1:15
	v_fmac_f32_e32 v1, v5, v10
	ds_read2_b32 v[4:5], v15 offset1:1
	ds_read2_b32 v[21:22], v21 offset1:1
	;; [unrolled: 1-line block ×4, first 2 shown]
	v_add_u32_e32 v15, 0x1040, v6
	s_waitcnt lgkmcnt(3)
	v_fmac_f32_e32 v20, v9, v4
	v_fmac_f32_e32 v20, v10, v5
	ds_read2st64_b32 v[4:5], v16 offset0:72 offset1:76
	s_waitcnt lgkmcnt(0)
	v_fmac_f32_e32 v1, v11, v4
	v_fmac_f32_e32 v20, v4, v21
	;; [unrolled: 1-line block ×4, first 2 shown]
	ds_read2st64_b32 v[4:5], v16 offset0:80 offset1:84
	v_add_u32_e32 v21, 0x1048, v6
	s_waitcnt lgkmcnt(0)
	v_fmac_f32_e32 v1, v7, v4
	v_fmac_f32_e32 v1, v8, v5
	ds_read2st64_b32 v[7:8], v16 offset0:88 offset1:92
	v_fmac_f32_e32 v20, v4, v23
	v_fmac_f32_e32 v20, v5, v24
	ds_read2_b32 v[4:5], v6 offset0:16 offset1:17
	ds_read2st64_b32 v[9:10], v16 offset0:96 offset1:100
	v_add_u32_e32 v23, 0x1050, v6
	s_waitcnt lgkmcnt(2)
	v_fmac_f32_e32 v1, v13, v7
	v_fmac_f32_e32 v1, v14, v8
	;; [unrolled: 1-line block ×3, first 2 shown]
	s_waitcnt lgkmcnt(0)
	v_fmac_f32_e32 v1, v4, v9
	v_add_u32_e32 v25, 0x1058, v6
	ds_read2_b32 v[11:12], v6 offset0:18 offset1:19
	v_fmac_f32_e32 v20, v8, v26
	ds_read2_b32 v[7:8], v6 offset0:20 offset1:21
	ds_read2_b32 v[13:14], v6 offset0:22 offset1:23
	v_fmac_f32_e32 v1, v5, v10
	ds_read2_b32 v[4:5], v15 offset1:1
	ds_read2_b32 v[21:22], v21 offset1:1
	;; [unrolled: 1-line block ×4, first 2 shown]
	s_waitcnt lgkmcnt(3)
	v_fmac_f32_e32 v20, v9, v4
	v_fmac_f32_e32 v20, v10, v5
	ds_read2st64_b32 v[4:5], v16 offset0:104 offset1:108
	s_waitcnt lgkmcnt(0)
	v_fmac_f32_e32 v1, v11, v4
	v_fmac_f32_e32 v20, v4, v21
	v_fmac_f32_e32 v1, v12, v5
	v_fmac_f32_e32 v20, v5, v22
	ds_read2st64_b32 v[4:5], v16 offset0:112 offset1:116
	v_add_u32_e32 v12, 0x1060, v6
	s_waitcnt lgkmcnt(0)
	v_fmac_f32_e32 v1, v7, v4
	v_fmac_f32_e32 v1, v8, v5
	ds_read2st64_b32 v[7:8], v16 offset0:120 offset1:124
	ds_read2_b32 v[10:11], v6 offset0:24 offset1:25
	ds_read2st64_b32 v[21:22], v16 offset0:128 offset1:132
	v_fmac_f32_e32 v20, v4, v23
	v_fmac_f32_e32 v20, v5, v24
	ds_read2_b32 v[23:24], v6 offset0:26 offset1:27
	s_waitcnt lgkmcnt(3)
	v_fmac_f32_e32 v1, v13, v7
	v_fmac_f32_e32 v1, v14, v8
	;; [unrolled: 1-line block ×4, first 2 shown]
	ds_read2_b32 v[8:9], v6 offset0:28 offset1:29
	ds_read2_b32 v[4:5], v6 offset0:30 offset1:31
	s_waitcnt lgkmcnt(3)
	v_fmac_f32_e32 v1, v10, v21
	v_add_u32_e32 v7, 0x1068, v6
	v_add_u32_e32 v10, 0x1070, v6
	v_add_u32_e32 v6, 0x1078, v6
	v_fmac_f32_e32 v1, v11, v22
	ds_read2_b32 v[14:15], v12 offset1:1
	ds_read2_b32 v[12:13], v7 offset1:1
	;; [unrolled: 1-line block ×4, first 2 shown]
	s_waitcnt lgkmcnt(3)
	v_fmac_f32_e32 v20, v21, v14
	v_fmac_f32_e32 v20, v22, v15
	ds_read2st64_b32 v[14:15], v16 offset0:136 offset1:140
	s_waitcnt lgkmcnt(0)
	v_fmac_f32_e32 v1, v23, v14
	v_fmac_f32_e32 v20, v14, v12
	;; [unrolled: 1-line block ×4, first 2 shown]
	ds_read2st64_b32 v[12:13], v16 offset0:144 offset1:148
	ds_read2st64_b32 v[14:15], v16 offset0:152 offset1:156
	s_waitcnt lgkmcnt(1)
	v_fmac_f32_e32 v1, v8, v12
	v_fmac_f32_e32 v1, v9, v13
	ds_read2st64_b32 v[8:9], v18 offset0:160 offset1:176
	v_fmac_f32_e32 v20, v12, v10
	v_fmac_f32_e32 v20, v13, v11
	s_waitcnt lgkmcnt(1)
	v_fmac_f32_e32 v1, v4, v14
	v_fmac_f32_e32 v20, v14, v6
	;; [unrolled: 1-line block ×4, first 2 shown]
	s_waitcnt lgkmcnt(0)
	v_add_f32_e32 v1, v1, v8
	v_add_f32_e32 v4, v20, v9
	ds_write2st64_b32 v18, v1, v4 offset0:160 offset1:176
	s_waitcnt lgkmcnt(0)
	s_barrier
	s_cbranch_scc0 .LBB2_1
; %bb.2:
	ds_read2st64_b32 v[0:1], v18 offset0:160 offset1:176
	v_mov_b32_e32 v4, s9
	v_add_co_u32_e32 v2, vcc, s8, v2
	v_addc_co_u32_e32 v3, vcc, v4, v3, vcc
	s_waitcnt lgkmcnt(0)
	global_store_dword v[2:3], v0, off
	v_add_co_u32_e32 v2, vcc, 0x1000, v2
	v_addc_co_u32_e32 v3, vcc, 0, v3, vcc
	global_store_dword v[2:3], v1, off
	s_endpgm
	.section	.rodata,"a",@progbits
	.p2align	6, 0x0
	.amdhsa_kernel _Z27kernel_256_OuterProduct_256PKfS0_Pf
		.amdhsa_group_segment_fixed_size 0
		.amdhsa_private_segment_fixed_size 0
		.amdhsa_kernarg_size 24
		.amdhsa_user_sgpr_count 6
		.amdhsa_user_sgpr_private_segment_buffer 1
		.amdhsa_user_sgpr_dispatch_ptr 0
		.amdhsa_user_sgpr_queue_ptr 0
		.amdhsa_user_sgpr_kernarg_segment_ptr 1
		.amdhsa_user_sgpr_dispatch_id 0
		.amdhsa_user_sgpr_flat_scratch_init 0
		.amdhsa_user_sgpr_private_segment_size 0
		.amdhsa_uses_dynamic_stack 0
		.amdhsa_system_sgpr_private_segment_wavefront_offset 0
		.amdhsa_system_sgpr_workgroup_id_x 1
		.amdhsa_system_sgpr_workgroup_id_y 1
		.amdhsa_system_sgpr_workgroup_id_z 0
		.amdhsa_system_sgpr_workgroup_info 0
		.amdhsa_system_vgpr_workitem_id 1
		.amdhsa_next_free_vgpr 28
		.amdhsa_next_free_sgpr 10
		.amdhsa_reserve_vcc 1
		.amdhsa_reserve_flat_scratch 0
		.amdhsa_float_round_mode_32 0
		.amdhsa_float_round_mode_16_64 0
		.amdhsa_float_denorm_mode_32 3
		.amdhsa_float_denorm_mode_16_64 3
		.amdhsa_dx10_clamp 1
		.amdhsa_ieee_mode 1
		.amdhsa_fp16_overflow 0
		.amdhsa_exception_fp_ieee_invalid_op 0
		.amdhsa_exception_fp_denorm_src 0
		.amdhsa_exception_fp_ieee_div_zero 0
		.amdhsa_exception_fp_ieee_overflow 0
		.amdhsa_exception_fp_ieee_underflow 0
		.amdhsa_exception_fp_ieee_inexact 0
		.amdhsa_exception_int_div_zero 0
	.end_amdhsa_kernel
	.text
.Lfunc_end2:
	.size	_Z27kernel_256_OuterProduct_256PKfS0_Pf, .Lfunc_end2-_Z27kernel_256_OuterProduct_256PKfS0_Pf
                                        ; -- End function
	.set _Z27kernel_256_OuterProduct_256PKfS0_Pf.num_vgpr, 28
	.set _Z27kernel_256_OuterProduct_256PKfS0_Pf.num_agpr, 0
	.set _Z27kernel_256_OuterProduct_256PKfS0_Pf.numbered_sgpr, 10
	.set _Z27kernel_256_OuterProduct_256PKfS0_Pf.num_named_barrier, 0
	.set _Z27kernel_256_OuterProduct_256PKfS0_Pf.private_seg_size, 0
	.set _Z27kernel_256_OuterProduct_256PKfS0_Pf.uses_vcc, 1
	.set _Z27kernel_256_OuterProduct_256PKfS0_Pf.uses_flat_scratch, 0
	.set _Z27kernel_256_OuterProduct_256PKfS0_Pf.has_dyn_sized_stack, 0
	.set _Z27kernel_256_OuterProduct_256PKfS0_Pf.has_recursion, 0
	.set _Z27kernel_256_OuterProduct_256PKfS0_Pf.has_indirect_call, 0
	.section	.AMDGPU.csdata,"",@progbits
; Kernel info:
; codeLenInByte = 1352
; TotalNumSgprs: 14
; NumVgprs: 28
; ScratchSize: 0
; MemoryBound: 0
; FloatMode: 240
; IeeeMode: 1
; LDSByteSize: 0 bytes/workgroup (compile time only)
; SGPRBlocks: 1
; VGPRBlocks: 6
; NumSGPRsForWavesPerEU: 14
; NumVGPRsForWavesPerEU: 28
; Occupancy: 9
; WaveLimiterHint : 1
; COMPUTE_PGM_RSRC2:SCRATCH_EN: 0
; COMPUTE_PGM_RSRC2:USER_SGPR: 6
; COMPUTE_PGM_RSRC2:TRAP_HANDLER: 0
; COMPUTE_PGM_RSRC2:TGID_X_EN: 1
; COMPUTE_PGM_RSRC2:TGID_Y_EN: 1
; COMPUTE_PGM_RSRC2:TGID_Z_EN: 0
; COMPUTE_PGM_RSRC2:TIDIG_COMP_CNT: 1
	.section	.AMDGPU.gpr_maximums,"",@progbits
	.set amdgpu.max_num_vgpr, 0
	.set amdgpu.max_num_agpr, 0
	.set amdgpu.max_num_sgpr, 0
	.section	.AMDGPU.csdata,"",@progbits
	.type	__hip_cuid_bb0a73cb60a47105,@object ; @__hip_cuid_bb0a73cb60a47105
	.section	.bss,"aw",@nobits
	.globl	__hip_cuid_bb0a73cb60a47105
__hip_cuid_bb0a73cb60a47105:
	.byte	0                               ; 0x0
	.size	__hip_cuid_bb0a73cb60a47105, 1

	.ident	"AMD clang version 22.0.0git (https://github.com/RadeonOpenCompute/llvm-project roc-7.2.4 26084 f58b06dce1f9c15707c5f808fd002e18c2accf7e)"
	.section	".note.GNU-stack","",@progbits
	.addrsig
	.addrsig_sym __hip_cuid_bb0a73cb60a47105
	.amdgpu_metadata
---
amdhsa.kernels:
  - .args:
      - .actual_access:  read_only
        .address_space:  global
        .offset:         0
        .size:           8
        .value_kind:     global_buffer
      - .actual_access:  write_only
        .address_space:  global
        .offset:         8
        .size:           8
        .value_kind:     global_buffer
    .group_segment_fixed_size: 0
    .kernarg_segment_align: 8
    .kernarg_segment_size: 16
    .language:       OpenCL C
    .language_version:
      - 2
      - 0
    .max_flat_workgroup_size: 1024
    .name:           _Z24kernel_256_winograd_BtdBPKfPf
    .private_segment_fixed_size: 0
    .sgpr_count:     17
    .sgpr_spill_count: 0
    .symbol:         _Z24kernel_256_winograd_BtdBPKfPf.kd
    .uniform_work_group_size: 1
    .uses_dynamic_stack: false
    .vgpr_count:     20
    .vgpr_spill_count: 0
    .wavefront_size: 64
  - .args:
      - .actual_access:  read_only
        .address_space:  global
        .offset:         0
        .size:           8
        .value_kind:     global_buffer
      - .actual_access:  read_only
        .address_space:  global
        .offset:         8
        .size:           8
        .value_kind:     global_buffer
      - .actual_access:  read_only
        .address_space:  global
        .offset:         16
        .size:           8
        .value_kind:     global_buffer
      - .actual_access:  write_only
        .address_space:  global
        .offset:         24
        .size:           8
        .value_kind:     global_buffer
    .group_segment_fixed_size: 8
    .kernarg_segment_align: 8
    .kernarg_segment_size: 32
    .language:       OpenCL C
    .language_version:
      - 2
      - 0
    .max_flat_workgroup_size: 1024
    .name:           _Z24kernel_256_winograd_AtIAPKfS0_S0_Pf
    .private_segment_fixed_size: 0
    .sgpr_count:     24
    .sgpr_spill_count: 0
    .symbol:         _Z24kernel_256_winograd_AtIAPKfS0_S0_Pf.kd
    .uniform_work_group_size: 1
    .uses_dynamic_stack: false
    .vgpr_count:     10
    .vgpr_spill_count: 0
    .wavefront_size: 64
  - .args:
      - .actual_access:  read_only
        .address_space:  global
        .offset:         0
        .size:           8
        .value_kind:     global_buffer
      - .actual_access:  read_only
        .address_space:  global
        .offset:         8
        .size:           8
        .value_kind:     global_buffer
      - .actual_access:  write_only
        .address_space:  global
        .offset:         16
        .size:           8
        .value_kind:     global_buffer
    .group_segment_fixed_size: 0
    .kernarg_segment_align: 8
    .kernarg_segment_size: 24
    .language:       OpenCL C
    .language_version:
      - 2
      - 0
    .max_flat_workgroup_size: 1024
    .name:           _Z27kernel_256_OuterProduct_256PKfS0_Pf
    .private_segment_fixed_size: 0
    .sgpr_count:     14
    .sgpr_spill_count: 0
    .symbol:         _Z27kernel_256_OuterProduct_256PKfS0_Pf.kd
    .uniform_work_group_size: 1
    .uses_dynamic_stack: false
    .vgpr_count:     28
    .vgpr_spill_count: 0
    .wavefront_size: 64
amdhsa.target:   amdgcn-amd-amdhsa--gfx906
amdhsa.version:
  - 1
  - 2
...

	.end_amdgpu_metadata
